;; amdgpu-corpus repo=ROCm/rocFFT kind=compiled arch=gfx1201 opt=O3
	.text
	.amdgcn_target "amdgcn-amd-amdhsa--gfx1201"
	.amdhsa_code_object_version 6
	.protected	bluestein_single_back_len1050_dim1_sp_op_CI_CI ; -- Begin function bluestein_single_back_len1050_dim1_sp_op_CI_CI
	.globl	bluestein_single_back_len1050_dim1_sp_op_CI_CI
	.p2align	8
	.type	bluestein_single_back_len1050_dim1_sp_op_CI_CI,@function
bluestein_single_back_len1050_dim1_sp_op_CI_CI: ; @bluestein_single_back_len1050_dim1_sp_op_CI_CI
; %bb.0:
	s_load_b128 s[8:11], s[0:1], 0x28
	v_mul_u32_u24_e32 v1, 0x139, v0
	s_mov_b32 s2, exec_lo
	v_mov_b32_e32 v45, 0
	s_delay_alu instid0(VALU_DEP_2) | instskip(NEXT) | instid1(VALU_DEP_1)
	v_lshrrev_b32_e32 v1, 16, v1
	v_add_nc_u32_e32 v44, ttmp9, v1
	s_wait_kmcnt 0x0
	s_delay_alu instid0(VALU_DEP_1)
	v_cmpx_gt_u64_e64 s[8:9], v[44:45]
	s_cbranch_execz .LBB0_31
; %bb.1:
	s_clause 0x1
	s_load_b128 s[4:7], s[0:1], 0x18
	s_load_b64 s[16:17], s[0:1], 0x0
	v_mul_lo_u16 v1, 0xd2, v1
	s_movk_i32 s2, 0xfec5
	s_mov_b32 s3, -1
	s_delay_alu instid0(VALU_DEP_1) | instskip(NEXT) | instid1(VALU_DEP_1)
	v_sub_nc_u16 v14, v0, v1
	v_and_b32_e32 v60, 0xffff, v14
	s_wait_kmcnt 0x0
	s_load_b128 s[12:15], s[4:5], 0x0
	s_wait_kmcnt 0x0
	v_mad_co_u64_u32 v[0:1], null, s14, v44, 0
	v_mad_co_u64_u32 v[2:3], null, s12, v60, 0
	s_mul_u64 s[4:5], s[12:13], 0x20d
	s_mul_u64 s[2:3], s[12:13], s[2:3]
	s_delay_alu instid0(SALU_CYCLE_1) | instskip(NEXT) | instid1(VALU_DEP_1)
	s_lshl_b64 s[2:3], s[2:3], 3
	v_mad_co_u64_u32 v[4:5], null, s15, v44, v[1:2]
	s_delay_alu instid0(VALU_DEP_1) | instskip(NEXT) | instid1(VALU_DEP_3)
	v_mov_b32_e32 v1, v4
	v_mad_co_u64_u32 v[5:6], null, s13, v60, v[3:4]
	v_lshlrev_b32_e32 v59, 3, v60
	s_delay_alu instid0(VALU_DEP_3)
	v_lshlrev_b64_e32 v[0:1], 3, v[0:1]
	s_clause 0x1
	global_load_b64 v[49:50], v59, s[16:17]
	global_load_b64 v[47:48], v59, s[16:17] offset:4200
	v_mov_b32_e32 v3, v5
	v_add_co_u32 v0, vcc_lo, s10, v0
	v_add_co_ci_u32_e32 v1, vcc_lo, s11, v1, vcc_lo
	s_delay_alu instid0(VALU_DEP_3) | instskip(SKIP_1) | instid1(VALU_DEP_1)
	v_lshlrev_b64_e32 v[2:3], 3, v[2:3]
	s_lshl_b64 s[10:11], s[4:5], 3
	v_add_co_u32 v0, vcc_lo, v0, v2
	s_wait_alu 0xfffd
	s_delay_alu instid0(VALU_DEP_2) | instskip(SKIP_1) | instid1(VALU_DEP_2)
	v_add_co_ci_u32_e32 v1, vcc_lo, v1, v3, vcc_lo
	s_wait_alu 0xfffe
	v_add_co_u32 v2, vcc_lo, v0, s10
	s_wait_alu 0xfffd
	s_delay_alu instid0(VALU_DEP_2)
	v_add_co_ci_u32_e32 v3, vcc_lo, s11, v1, vcc_lo
	s_clause 0x1
	global_load_b64 v[4:5], v[0:1], off
	global_load_b64 v[6:7], v[2:3], off
	v_add_co_u32 v2, vcc_lo, v2, s2
	s_wait_alu 0xfffd
	v_add_co_ci_u32_e32 v3, vcc_lo, s3, v3, vcc_lo
	s_delay_alu instid0(VALU_DEP_2) | instskip(SKIP_1) | instid1(VALU_DEP_2)
	v_add_co_u32 v0, vcc_lo, v2, s10
	s_wait_alu 0xfffd
	v_add_co_ci_u32_e32 v1, vcc_lo, s11, v3, vcc_lo
	v_cmp_gt_u16_e32 vcc_lo, 0x69, v14
	s_wait_loadcnt 0x1
	v_mul_f32_e32 v10, v5, v50
	s_wait_loadcnt 0x0
	v_mul_f32_e32 v12, v7, v48
	s_clause 0x1
	global_load_b64 v[51:52], v59, s[16:17] offset:5880
	global_load_b64 v[53:54], v59, s[16:17] offset:1680
	s_clause 0x1
	global_load_b64 v[2:3], v[2:3], off
	global_load_b64 v[8:9], v[0:1], off
	s_load_b64 s[8:9], s[0:1], 0x38
	s_load_b128 s[4:7], s[6:7], 0x0
	v_mul_f32_e32 v11, v4, v50
	v_fmac_f32_e32 v10, v4, v49
	v_fmac_f32_e32 v12, v6, v47
	v_add_co_u32 v45, s12, s16, v59
	s_delay_alu instid0(VALU_DEP_4) | instskip(SKIP_3) | instid1(VALU_DEP_2)
	v_fma_f32 v11, v5, v49, -v11
	v_mul_f32_e32 v5, v6, v48
	s_wait_alu 0xf1ff
	v_add_co_ci_u32_e64 v46, null, s17, 0, s12
	v_fma_f32 v13, v7, v47, -v5
	s_wait_loadcnt 0x1
	v_mul_f32_e32 v4, v3, v54
	s_wait_loadcnt 0x0
	v_dual_mul_f32 v15, v2, v54 :: v_dual_mul_f32 v6, v9, v52
	v_mul_f32_e32 v16, v8, v52
	s_delay_alu instid0(VALU_DEP_3) | instskip(NEXT) | instid1(VALU_DEP_3)
	v_fmac_f32_e32 v4, v2, v53
	v_fma_f32 v5, v3, v53, -v15
	s_delay_alu instid0(VALU_DEP_4) | instskip(NEXT) | instid1(VALU_DEP_4)
	v_fmac_f32_e32 v6, v8, v51
	v_fma_f32 v7, v9, v51, -v16
	ds_store_b64 v59, v[12:13] offset:4200
	ds_store_2addr_b64 v59, v[10:11], v[4:5] offset1:210
	ds_store_b64 v59, v[6:7] offset:5880
	s_and_saveexec_b32 s12, vcc_lo
	s_cbranch_execz .LBB0_3
; %bb.2:
	v_add_co_u32 v0, s2, v0, s2
	s_wait_alu 0xf1ff
	v_add_co_ci_u32_e64 v1, s2, s3, v1, s2
	s_delay_alu instid0(VALU_DEP_2) | instskip(SKIP_1) | instid1(VALU_DEP_2)
	v_add_co_u32 v2, s2, v0, s10
	s_wait_alu 0xf1ff
	v_add_co_ci_u32_e64 v3, s2, s11, v1, s2
	global_load_b64 v[0:1], v[0:1], off
	s_clause 0x1
	global_load_b64 v[4:5], v[45:46], off offset:3360
	global_load_b64 v[6:7], v[45:46], off offset:7560
	global_load_b64 v[2:3], v[2:3], off
	s_wait_loadcnt 0x2
	v_mul_f32_e32 v8, v1, v5
	v_mul_f32_e32 v9, v0, v5
	s_wait_loadcnt 0x0
	v_mul_f32_e32 v5, v3, v7
	s_delay_alu instid0(VALU_DEP_3) | instskip(NEXT) | instid1(VALU_DEP_3)
	v_dual_mul_f32 v7, v2, v7 :: v_dual_fmac_f32 v8, v0, v4
	v_fma_f32 v9, v1, v4, -v9
	s_delay_alu instid0(VALU_DEP_3) | instskip(NEXT) | instid1(VALU_DEP_3)
	v_fmac_f32_e32 v5, v2, v6
	v_fma_f32 v6, v3, v6, -v7
	ds_store_b64 v59, v[8:9] offset:3360
	ds_store_b64 v59, v[5:6] offset:7560
.LBB0_3:
	s_wait_alu 0xfffe
	s_or_b32 exec_lo, exec_lo, s12
	v_add_nc_u32_e32 v4, 0x1000, v59
	global_wb scope:SCOPE_SE
	s_wait_dscnt 0x0
	s_wait_kmcnt 0x0
	s_barrier_signal -1
	s_barrier_wait -1
	global_inv scope:SCOPE_SE
	ds_load_2addr_b64 v[0:3], v59 offset1:210
	ds_load_2addr_b64 v[4:7], v4 offset0:13 offset1:223
                                        ; implicit-def: $vgpr8
                                        ; implicit-def: $vgpr10
	s_and_saveexec_b32 s2, vcc_lo
	s_cbranch_execz .LBB0_5
; %bb.4:
	ds_load_b64 v[10:11], v59 offset:3360
	ds_load_b64 v[8:9], v59 offset:7560
.LBB0_5:
	s_wait_alu 0xfffe
	s_or_b32 exec_lo, exec_lo, s2
	s_load_b64 s[2:3], s[0:1], 0x8
	s_wait_dscnt 0x0
	v_dual_sub_f32 v14, v0, v4 :: v_dual_sub_f32 v15, v1, v5
	v_add_co_u32 v16, null, 0xd2, v60
	v_add_co_u32 v17, null, 0x1a4, v60
	s_delay_alu instid0(VALU_DEP_3) | instskip(SKIP_3) | instid1(VALU_DEP_3)
	v_fma_f32 v12, v0, 2.0, -v14
	v_lshlrev_b16 v0, 1, v60
	v_dual_sub_f32 v8, v10, v8 :: v_dual_sub_f32 v9, v11, v9
	v_dual_sub_f32 v4, v2, v6 :: v_dual_sub_f32 v5, v3, v7
	v_and_b32_e32 v0, 0xffff, v0
	v_fma_f32 v13, v1, 2.0, -v15
	s_delay_alu instid0(VALU_DEP_4)
	v_fma_f32 v6, v10, 2.0, -v8
	v_fma_f32 v7, v11, 2.0, -v9
	v_lshlrev_b32_e32 v65, 4, v16
	v_lshlrev_b32_e32 v64, 3, v0
	;; [unrolled: 1-line block ×3, first 2 shown]
	v_fma_f32 v2, v2, 2.0, -v4
	v_fma_f32 v3, v3, 2.0, -v5
	global_wb scope:SCOPE_SE
	s_wait_kmcnt 0x0
	s_barrier_signal -1
	s_barrier_wait -1
	global_inv scope:SCOPE_SE
	ds_store_b128 v64, v[12:15]
	ds_store_b128 v65, v[2:5]
	s_and_saveexec_b32 s0, vcc_lo
	s_cbranch_execz .LBB0_7
; %bb.6:
	ds_store_b128 v63, v[6:9]
.LBB0_7:
	s_wait_alu 0xfffe
	s_or_b32 exec_lo, exec_lo, s0
	global_wb scope:SCOPE_SE
	s_wait_dscnt 0x0
	s_barrier_signal -1
	s_barrier_wait -1
	global_inv scope:SCOPE_SE
	ds_load_b64 v[10:11], v59
	ds_load_b64 v[14:15], v59 offset:2800
	ds_load_b64 v[12:13], v59 offset:5600
	v_cmp_gt_u16_e64 s0, 0x8c, v60
	s_delay_alu instid0(VALU_DEP_1)
	s_and_saveexec_b32 s1, s0
	s_cbranch_execz .LBB0_9
; %bb.8:
	ds_load_b64 v[4:5], v59 offset:1680
	ds_load_b64 v[6:7], v59 offset:4480
	;; [unrolled: 1-line block ×3, first 2 shown]
.LBB0_9:
	s_wait_alu 0xfffe
	s_or_b32 exec_lo, exec_lo, s1
	v_and_b32_e32 v61, 1, v60
	v_lshrrev_b32_e32 v17, 1, v60
	v_lshrrev_b32_e32 v62, 1, v16
	s_delay_alu instid0(VALU_DEP_3) | instskip(NEXT) | instid1(VALU_DEP_3)
	v_lshlrev_b32_e32 v0, 4, v61
	v_mul_u32_u24_e32 v17, 6, v17
	global_load_b128 v[0:3], v0, s[2:3]
	global_wb scope:SCOPE_SE
	s_wait_loadcnt_dscnt 0x0
	s_barrier_signal -1
	s_barrier_wait -1
	global_inv scope:SCOPE_SE
	v_dual_mul_f32 v21, v12, v3 :: v_dual_mul_f32 v18, v15, v1
	v_or_b32_e32 v17, v17, v61
	v_dual_mul_f32 v19, v14, v1 :: v_dual_mul_f32 v20, v13, v3
	s_delay_alu instid0(VALU_DEP_3) | instskip(NEXT) | instid1(VALU_DEP_3)
	v_dual_mul_f32 v22, v7, v1 :: v_dual_fmac_f32 v21, v13, v2
	v_dual_mul_f32 v23, v9, v3 :: v_dual_lshlrev_b32 v66, 3, v17
	v_dual_mul_f32 v17, v6, v1 :: v_dual_mul_f32 v16, v8, v3
	v_fma_f32 v14, v14, v0, -v18
	v_fmac_f32_e32 v19, v15, v0
	v_fma_f32 v15, v12, v2, -v20
	v_fma_f32 v12, v6, v0, -v22
	v_dual_fmac_f32 v16, v9, v2 :: v_dual_fmac_f32 v17, v7, v0
	v_fma_f32 v6, v8, v2, -v23
	v_add_f32_e32 v8, v10, v14
	v_dual_add_f32 v13, v14, v15 :: v_dual_sub_f32 v20, v19, v21
	s_delay_alu instid0(VALU_DEP_3) | instskip(SKIP_4) | instid1(VALU_DEP_4)
	v_dual_add_f32 v18, v11, v19 :: v_dual_add_f32 v23, v12, v6
	v_dual_add_f32 v19, v19, v21 :: v_dual_sub_f32 v22, v14, v15
	v_dual_add_f32 v24, v17, v16 :: v_dual_sub_f32 v9, v12, v6
	v_dual_sub_f32 v7, v17, v16 :: v_dual_add_f32 v14, v8, v15
	v_fma_f32 v10, -0.5, v13, v10
	v_fmac_f32_e32 v11, -0.5, v19
	v_fma_f32 v8, -0.5, v23, v4
	v_fma_f32 v13, -0.5, v24, v5
	s_delay_alu instid0(VALU_DEP_4) | instskip(NEXT) | instid1(VALU_DEP_4)
	v_dual_add_f32 v15, v18, v21 :: v_dual_fmamk_f32 v18, v20, 0x3f5db3d7, v10
	v_dual_fmac_f32 v10, 0xbf5db3d7, v20 :: v_dual_fmamk_f32 v19, v22, 0xbf5db3d7, v11
	s_delay_alu instid0(VALU_DEP_4) | instskip(NEXT) | instid1(VALU_DEP_4)
	v_fmamk_f32 v34, v7, 0xbf5db3d7, v8
	v_fmamk_f32 v35, v9, 0x3f5db3d7, v13
	v_fmac_f32_e32 v11, 0x3f5db3d7, v22
	ds_store_2addr_b64 v66, v[14:15], v[18:19] offset1:2
	ds_store_b64 v66, v[10:11] offset:32
	s_and_saveexec_b32 s1, s0
	s_cbranch_execz .LBB0_11
; %bb.10:
	v_mul_u32_u24_e32 v10, 6, v62
	v_dual_mul_f32 v9, 0x3f5db3d7, v9 :: v_dual_add_f32 v12, v4, v12
	v_mul_f32_e32 v7, 0x3f5db3d7, v7
	s_delay_alu instid0(VALU_DEP_3) | instskip(NEXT) | instid1(VALU_DEP_3)
	v_or_b32_e32 v10, v10, v61
	v_dual_add_f32 v6, v12, v6 :: v_dual_add_f32 v11, v5, v17
	s_delay_alu instid0(VALU_DEP_3) | instskip(NEXT) | instid1(VALU_DEP_2)
	v_dual_add_f32 v4, v7, v8 :: v_dual_sub_f32 v5, v13, v9
	v_dual_add_f32 v7, v11, v16 :: v_dual_lshlrev_b32 v8, 3, v10
	ds_store_2addr_b64 v8, v[6:7], v[4:5] offset1:2
	ds_store_b64 v8, v[34:35] offset:32
.LBB0_11:
	s_wait_alu 0xfffe
	s_or_b32 exec_lo, exec_lo, s1
	v_and_b32_e32 v12, 0xff, v60
	global_wb scope:SCOPE_SE
	s_wait_dscnt 0x0
	s_barrier_signal -1
	s_barrier_wait -1
	global_inv scope:SCOPE_SE
	v_mul_lo_u16 v4, 0xab, v12
	v_mul_lo_u16 v12, 0x89, v12
	v_cmp_gt_u16_e64 s1, 0x96, v60
	s_delay_alu instid0(VALU_DEP_3) | instskip(NEXT) | instid1(VALU_DEP_3)
	v_lshrrev_b16 v22, 10, v4
	v_lshrrev_b16 v30, 12, v12
	s_delay_alu instid0(VALU_DEP_2) | instskip(NEXT) | instid1(VALU_DEP_2)
	v_mul_lo_u16 v4, v22, 6
	v_mul_lo_u16 v25, v30, 30
	s_delay_alu instid0(VALU_DEP_2) | instskip(NEXT) | instid1(VALU_DEP_2)
	v_sub_nc_u16 v4, v60, v4
	v_sub_nc_u16 v25, v60, v25
	s_delay_alu instid0(VALU_DEP_2) | instskip(NEXT) | instid1(VALU_DEP_1)
	v_and_b32_e32 v23, 0xff, v4
	v_lshlrev_b32_e32 v4, 5, v23
	s_clause 0x1
	global_load_b128 v[8:11], v4, s[2:3] offset:32
	global_load_b128 v[4:7], v4, s[2:3] offset:48
	v_add_nc_u32_e32 v24, 0xc00, v59
	ds_load_2addr_b64 v[12:15], v59 offset1:210
	ds_load_2addr_b64 v[16:19], v24 offset0:36 offset1:246
	ds_load_b64 v[20:21], v59 offset:6720
	v_and_b32_e32 v22, 0xffff, v22
	v_and_b32_e32 v31, 0xff, v25
	global_wb scope:SCOPE_SE
	s_wait_loadcnt_dscnt 0x0
	s_barrier_signal -1
	s_barrier_wait -1
	global_inv scope:SCOPE_SE
	v_mul_f32_e32 v27, v16, v11
	v_mul_f32_e32 v32, v21, v7
	v_mul_u32_u24_e32 v22, 30, v22
	v_dual_mul_f32 v25, v14, v9 :: v_dual_mul_f32 v26, v17, v11
	v_dual_mul_f32 v28, v19, v5 :: v_dual_mul_f32 v33, v20, v7
	s_delay_alu instid0(VALU_DEP_3) | instskip(SKIP_1) | instid1(VALU_DEP_4)
	v_add_lshl_u32 v67, v22, v23, 3
	v_dual_mul_f32 v23, v15, v9 :: v_dual_lshlrev_b32 v22, 5, v31
	v_fmac_f32_e32 v25, v15, v8
	v_fma_f32 v15, v16, v10, -v26
	v_fma_f32 v16, v18, v4, -v28
	s_delay_alu instid0(VALU_DEP_4)
	v_fma_f32 v14, v14, v8, -v23
	v_mul_f32_e32 v29, v18, v5
	v_fmac_f32_e32 v27, v17, v10
	v_fma_f32 v20, v20, v6, -v32
	v_dual_add_f32 v18, v15, v16 :: v_dual_fmac_f32 v33, v21, v6
	v_add_f32_e32 v17, v12, v14
	v_sub_f32_e32 v32, v15, v14
	s_delay_alu instid0(VALU_DEP_4) | instskip(NEXT) | instid1(VALU_DEP_4)
	v_add_f32_e32 v28, v14, v20
	v_dual_sub_f32 v26, v20, v16 :: v_dual_sub_f32 v21, v25, v33
	v_fmac_f32_e32 v29, v19, v4
	v_dual_sub_f32 v19, v14, v15 :: v_dual_sub_f32 v36, v16, v20
	v_dual_add_f32 v37, v13, v25 :: v_dual_sub_f32 v40, v15, v16
	v_sub_f32_e32 v39, v14, v20
	v_add_f32_e32 v17, v17, v15
	v_fma_f32 v14, -0.5, v18, v12
	v_dual_add_f32 v43, v25, v33 :: v_dual_add_f32 v26, v19, v26
	v_fma_f32 v12, -0.5, v28, v12
	v_dual_add_f32 v28, v32, v36 :: v_dual_add_f32 v19, v37, v27
	v_add_f32_e32 v32, v17, v16
	v_fmamk_f32 v16, v21, 0x3f737871, v14
	v_dual_add_f32 v38, v27, v29 :: v_dual_sub_f32 v41, v25, v27
	s_delay_alu instid0(VALU_DEP_3) | instskip(SKIP_1) | instid1(VALU_DEP_3)
	v_dual_sub_f32 v23, v27, v29 :: v_dual_add_f32 v20, v32, v20
	v_sub_f32_e32 v42, v33, v29
	v_fma_f32 v15, -0.5, v38, v13
	v_fma_f32 v13, -0.5, v43, v13
	v_sub_f32_e32 v25, v27, v25
	v_dual_sub_f32 v55, v29, v33 :: v_dual_fmamk_f32 v18, v23, 0xbf737871, v12
	v_fmac_f32_e32 v12, 0x3f737871, v23
	v_dual_fmamk_f32 v17, v39, 0xbf737871, v15 :: v_dual_fmac_f32 v14, 0xbf737871, v21
	v_add_f32_e32 v29, v19, v29
	v_fmamk_f32 v19, v40, 0x3f737871, v13
	v_fmac_f32_e32 v13, 0xbf737871, v40
	v_fmac_f32_e32 v15, 0x3f737871, v39
	v_dual_add_f32 v27, v41, v42 :: v_dual_fmac_f32 v16, 0x3f167918, v23
	v_dual_fmac_f32 v12, 0xbf167918, v21 :: v_dual_fmac_f32 v17, 0xbf167918, v40
	v_dual_add_f32 v25, v25, v55 :: v_dual_fmac_f32 v18, 0x3f167918, v21
	v_dual_fmac_f32 v14, 0xbf167918, v23 :: v_dual_add_f32 v21, v29, v33
	v_fmac_f32_e32 v19, 0xbf167918, v39
	v_fmac_f32_e32 v13, 0x3f167918, v39
	;; [unrolled: 1-line block ×3, first 2 shown]
	v_dual_fmac_f32 v16, 0x3e9e377a, v26 :: v_dual_fmac_f32 v17, 0x3e9e377a, v27
	s_delay_alu instid0(VALU_DEP_4) | instskip(NEXT) | instid1(VALU_DEP_4)
	v_dual_fmac_f32 v14, 0x3e9e377a, v26 :: v_dual_fmac_f32 v19, 0x3e9e377a, v25
	v_dual_fmac_f32 v18, 0x3e9e377a, v28 :: v_dual_fmac_f32 v13, 0x3e9e377a, v25
	s_delay_alu instid0(VALU_DEP_4)
	v_dual_fmac_f32 v12, 0x3e9e377a, v28 :: v_dual_fmac_f32 v15, 0x3e9e377a, v27
	ds_store_2addr_b64 v67, v[20:21], v[16:17] offset1:6
	ds_store_2addr_b64 v67, v[18:19], v[12:13] offset0:12 offset1:18
	ds_store_b64 v67, v[14:15] offset:192
	global_wb scope:SCOPE_SE
	s_wait_dscnt 0x0
	s_barrier_signal -1
	s_barrier_wait -1
	global_inv scope:SCOPE_SE
	s_clause 0x1
	global_load_b128 v[16:19], v22, s[2:3] offset:224
	global_load_b128 v[12:15], v22, s[2:3] offset:240
	ds_load_2addr_b64 v[20:23], v59 offset1:210
	ds_load_2addr_b64 v[24:27], v24 offset0:36 offset1:246
	ds_load_b64 v[28:29], v59 offset:6720
	v_and_b32_e32 v30, 0xffff, v30
	global_wb scope:SCOPE_SE
	s_wait_loadcnt_dscnt 0x0
	s_barrier_signal -1
	s_barrier_wait -1
	global_inv scope:SCOPE_SE
	v_mul_u32_u24_e32 v30, 0x96, v30
	s_delay_alu instid0(VALU_DEP_1)
	v_add_lshl_u32 v68, v30, v31, 3
	v_mul_f32_e32 v31, v22, v17
	v_mul_f32_e32 v30, v23, v17
	v_mul_f32_e32 v32, v25, v19
	v_mul_f32_e32 v36, v27, v13
	v_mul_f32_e32 v38, v29, v15
	s_delay_alu instid0(VALU_DEP_4)
	v_fma_f32 v22, v22, v16, -v30
	v_mul_f32_e32 v33, v24, v19
	v_fmac_f32_e32 v31, v23, v16
	v_fma_f32 v23, v24, v18, -v32
	v_fma_f32 v24, v26, v12, -v36
	v_mul_f32_e32 v55, v28, v15
	v_fmac_f32_e32 v33, v25, v18
	v_fma_f32 v25, v28, v14, -v38
	v_sub_f32_e32 v30, v22, v23
	v_sub_f32_e32 v56, v23, v24
	s_delay_alu instid0(VALU_DEP_3)
	v_sub_f32_e32 v40, v24, v25
	v_sub_f32_e32 v36, v25, v24
	v_fmac_f32_e32 v55, v29, v14
	v_mul_f32_e32 v37, v26, v13
	v_add_f32_e32 v38, v22, v25
	v_add_f32_e32 v26, v20, v22
	s_delay_alu instid0(VALU_DEP_4) | instskip(SKIP_1) | instid1(VALU_DEP_4)
	v_sub_f32_e32 v28, v31, v55
	v_sub_f32_e32 v39, v23, v22
	v_fma_f32 v42, -0.5, v38, v20
	v_sub_f32_e32 v57, v31, v33
	v_fmac_f32_e32 v37, v27, v12
	v_add_f32_e32 v27, v23, v24
	v_add_f32_e32 v23, v26, v23
	v_dual_add_f32 v26, v30, v36 :: v_dual_add_f32 v41, v21, v31
	s_delay_alu instid0(VALU_DEP_4) | instskip(SKIP_1) | instid1(VALU_DEP_2)
	v_sub_f32_e32 v58, v55, v37
	v_sub_f32_e32 v22, v22, v25
	v_add_f32_e32 v30, v57, v58
	v_sub_f32_e32 v70, v37, v55
	v_fma_f32 v32, -0.5, v27, v20
	s_delay_alu instid0(VALU_DEP_1) | instskip(SKIP_2) | instid1(VALU_DEP_2)
	v_dual_add_f32 v43, v33, v37 :: v_dual_fmamk_f32 v38, v28, 0x3f737871, v32
	v_dual_fmac_f32 v32, 0xbf737871, v28 :: v_dual_sub_f32 v29, v33, v37
	v_add_f32_e32 v20, v39, v40
	v_dual_add_f32 v69, v31, v55 :: v_dual_fmamk_f32 v40, v29, 0xbf737871, v42
	v_fmac_f32_e32 v42, 0x3f737871, v29
	v_add_f32_e32 v27, v41, v33
	v_dual_fmac_f32 v38, 0x3f167918, v29 :: v_dual_add_f32 v23, v23, v24
	s_delay_alu instid0(VALU_DEP_4) | instskip(NEXT) | instid1(VALU_DEP_3)
	v_dual_fmac_f32 v40, 0x3f167918, v28 :: v_dual_sub_f32 v31, v33, v31
	v_add_f32_e32 v24, v27, v37
	v_fma_f32 v33, -0.5, v43, v21
	v_fma_f32 v43, -0.5, v69, v21
	v_fmac_f32_e32 v38, 0x3e9e377a, v26
	v_dual_add_f32 v21, v31, v70 :: v_dual_fmac_f32 v32, 0xbf167918, v29
	s_delay_alu instid0(VALU_DEP_4)
	v_dual_fmamk_f32 v39, v22, 0xbf737871, v33 :: v_dual_add_f32 v36, v23, v25
	v_fmac_f32_e32 v33, 0x3f737871, v22
	v_fmamk_f32 v41, v56, 0x3f737871, v43
	v_fmac_f32_e32 v43, 0xbf737871, v56
	v_dual_fmac_f32 v42, 0xbf167918, v28 :: v_dual_add_f32 v37, v24, v55
	v_fmac_f32_e32 v39, 0xbf167918, v56
	v_fmac_f32_e32 v33, 0x3f167918, v56
	;; [unrolled: 1-line block ×5, first 2 shown]
	v_dual_fmac_f32 v40, 0x3e9e377a, v20 :: v_dual_fmac_f32 v39, 0x3e9e377a, v30
	s_delay_alu instid0(VALU_DEP_3)
	v_dual_fmac_f32 v42, 0x3e9e377a, v20 :: v_dual_fmac_f32 v43, 0x3e9e377a, v21
	v_fmac_f32_e32 v41, 0x3e9e377a, v21
	v_fmac_f32_e32 v33, 0x3e9e377a, v30
	ds_store_2addr_b64 v68, v[36:37], v[38:39] offset1:30
	ds_store_2addr_b64 v68, v[40:41], v[42:43] offset0:60 offset1:90
	ds_store_b64 v68, v[32:33] offset:960
	global_wb scope:SCOPE_SE
	s_wait_dscnt 0x0
	s_barrier_signal -1
	s_barrier_wait -1
	global_inv scope:SCOPE_SE
                                        ; implicit-def: $vgpr55
	s_and_saveexec_b32 s10, s1
	s_cbranch_execz .LBB0_13
; %bb.12:
	v_add_nc_u32_e32 v20, 0x800, v59
	v_add_nc_u32_e32 v21, 0x1000, v59
	ds_load_2addr_b64 v[36:39], v59 offset1:150
	ds_load_2addr_b64 v[40:43], v20 offset0:44 offset1:194
	ds_load_2addr_b64 v[32:35], v21 offset0:88 offset1:238
	ds_load_b64 v[55:56], v59 offset:7200
.LBB0_13:
	s_wait_alu 0xfffe
	s_or_b32 exec_lo, exec_lo, s10
	v_add_nc_u32_e32 v20, 0xffffff6a, v60
	s_delay_alu instid0(VALU_DEP_1) | instskip(NEXT) | instid1(VALU_DEP_1)
	v_cndmask_b32_e64 v20, v20, v60, s1
	v_mul_i32_i24_e32 v21, 48, v20
	v_mul_hi_i32_i24_e32 v20, 48, v20
	s_delay_alu instid0(VALU_DEP_2) | instskip(SKIP_1) | instid1(VALU_DEP_2)
	v_add_co_u32 v28, s2, s2, v21
	s_wait_alu 0xf1ff
	v_add_co_ci_u32_e64 v29, s2, s3, v20, s2
	s_clause 0x2
	global_load_b128 v[24:27], v[28:29], off offset:1184
	global_load_b128 v[20:23], v[28:29], off offset:1200
	;; [unrolled: 1-line block ×3, first 2 shown]
	s_wait_loadcnt_dscnt 0x202
	v_dual_mul_f32 v57, v39, v25 :: v_dual_mul_f32 v70, v40, v27
	s_wait_loadcnt 0x1
	v_mul_f32_e32 v71, v43, v21
	s_wait_dscnt 0x1
	v_dual_mul_f32 v72, v42, v21 :: v_dual_mul_f32 v73, v33, v23
	s_wait_loadcnt 0x0
	v_dual_mul_f32 v74, v32, v23 :: v_dual_mul_f32 v75, v35, v29
	s_wait_dscnt 0x0
	v_dual_mul_f32 v76, v34, v29 :: v_dual_mul_f32 v77, v56, v31
	v_dual_mul_f32 v58, v38, v25 :: v_dual_mul_f32 v69, v41, v27
	v_fma_f32 v38, v38, v24, -v57
	v_fma_f32 v32, v32, v22, -v73
	v_fmac_f32_e32 v74, v33, v22
	v_fma_f32 v33, v34, v28, -v75
	v_fmac_f32_e32 v70, v41, v26
	v_fma_f32 v41, v55, v30, -v77
	s_delay_alu instid0(VALU_DEP_1) | instskip(SKIP_3) | instid1(VALU_DEP_2)
	v_add_f32_e32 v34, v38, v41
	v_fmac_f32_e32 v58, v39, v24
	v_fma_f32 v39, v40, v26, -v69
	v_fma_f32 v40, v42, v20, -v71
	v_add_f32_e32 v42, v39, v33
	v_sub_f32_e32 v33, v39, v33
	s_delay_alu instid0(VALU_DEP_2) | instskip(SKIP_4) | instid1(VALU_DEP_4)
	v_dual_add_f32 v57, v42, v34 :: v_dual_fmac_f32 v76, v35, v28
	v_mul_f32_e32 v78, v55, v31
	v_fmac_f32_e32 v72, v43, v20
	v_add_f32_e32 v55, v40, v32
	v_sub_f32_e32 v32, v32, v40
	v_dual_add_f32 v43, v70, v76 :: v_dual_fmac_f32 v78, v56, v30
	v_sub_f32_e32 v39, v70, v76
	s_delay_alu instid0(VALU_DEP_2)
	v_add_f32_e32 v35, v58, v78
	v_add_f32_e32 v56, v72, v74
	v_sub_f32_e32 v38, v38, v41
	v_sub_f32_e32 v41, v58, v78
	;; [unrolled: 1-line block ×3, first 2 shown]
	v_add_f32_e32 v58, v43, v35
	v_sub_f32_e32 v70, v43, v35
	s_delay_alu instid0(VALU_DEP_3)
	v_add_f32_e32 v72, v40, v39
	v_dual_sub_f32 v74, v40, v39 :: v_dual_sub_f32 v39, v39, v41
	v_sub_f32_e32 v35, v35, v56
	v_sub_f32_e32 v43, v56, v43
	;; [unrolled: 1-line block ×5, first 2 shown]
	v_dual_sub_f32 v42, v55, v42 :: v_dual_mul_f32 v35, 0x3f4a47b2, v35
	v_add_f32_e32 v55, v55, v57
	v_add_f32_e32 v71, v32, v33
	v_dual_sub_f32 v73, v32, v33 :: v_dual_sub_f32 v76, v41, v40
	v_sub_f32_e32 v40, v33, v38
	s_delay_alu instid0(VALU_DEP_4) | instskip(SKIP_3) | instid1(VALU_DEP_4)
	v_add_f32_e32 v32, v36, v55
	v_add_f32_e32 v56, v56, v58
	;; [unrolled: 1-line block ×3, first 2 shown]
	v_mul_f32_e32 v71, 0xbf08b237, v73
	v_dual_fmamk_f32 v55, v55, 0xbf955555, v32 :: v_dual_add_f32 v58, v72, v41
	s_delay_alu instid0(VALU_DEP_4) | instskip(SKIP_3) | instid1(VALU_DEP_4)
	v_add_f32_e32 v33, v37, v56
	v_mul_f32_e32 v41, 0x3d64c772, v43
	v_fmamk_f32 v37, v43, 0x3d64c772, v35
	v_mul_f32_e32 v73, 0x3f5ff5aa, v40
	v_fmamk_f32 v56, v56, 0xbf955555, v33
	s_delay_alu instid0(VALU_DEP_4) | instskip(SKIP_2) | instid1(VALU_DEP_2)
	v_fma_f32 v77, 0x3f3bfb3b, v70, -v41
	v_mul_f32_e32 v38, 0x3d64c772, v42
	v_fma_f32 v70, 0xbf3bfb3b, v70, -v35
	v_fma_f32 v43, 0x3f3bfb3b, v69, -v38
	v_mul_f32_e32 v34, 0x3f4a47b2, v34
	v_fma_f32 v38, 0x3f5ff5aa, v40, -v71
	v_fma_f32 v40, 0xbeae86e6, v75, -v73
	s_delay_alu instid0(VALU_DEP_4) | instskip(NEXT) | instid1(VALU_DEP_4)
	v_add_f32_e32 v43, v43, v55
	v_fma_f32 v69, 0xbf3bfb3b, v69, -v34
	v_mul_f32_e32 v72, 0xbf08b237, v74
	v_fmac_f32_e32 v38, 0x3ee1c552, v57
	s_delay_alu instid0(VALU_DEP_3) | instskip(SKIP_1) | instid1(VALU_DEP_4)
	v_dual_fmac_f32 v40, 0x3ee1c552, v57 :: v_dual_add_f32 v69, v69, v55
	v_fmamk_f32 v36, v42, 0x3d64c772, v34
	v_dual_fmamk_f32 v34, v75, 0x3eae86e6, v71 :: v_dual_fmamk_f32 v35, v76, 0x3eae86e6, v72
	v_dual_add_f32 v71, v77, v56 :: v_dual_mul_f32 v74, 0x3f5ff5aa, v39
	v_fma_f32 v39, 0x3f5ff5aa, v39, -v72
	v_add_f32_e32 v72, v70, v56
	s_delay_alu instid0(VALU_DEP_3) | instskip(NEXT) | instid1(VALU_DEP_4)
	v_dual_add_f32 v70, v37, v56 :: v_dual_sub_f32 v37, v71, v38
	v_fma_f32 v41, 0xbeae86e6, v76, -v74
	s_delay_alu instid0(VALU_DEP_4) | instskip(SKIP_1) | instid1(VALU_DEP_3)
	v_dual_fmac_f32 v34, 0x3ee1c552, v57 :: v_dual_fmac_f32 v39, 0x3ee1c552, v58
	v_fmac_f32_e32 v35, 0x3ee1c552, v58
	v_dual_fmac_f32 v41, 0x3ee1c552, v58 :: v_dual_add_f32 v58, v40, v72
	s_delay_alu instid0(VALU_DEP_1) | instskip(SKIP_2) | instid1(VALU_DEP_2)
	v_dual_add_f32 v56, v34, v70 :: v_dual_sub_f32 v57, v69, v41
	v_add_f32_e32 v42, v36, v55
	v_add_f32_e32 v36, v39, v43
	v_sub_f32_e32 v55, v42, v35
	s_and_saveexec_b32 s2, s1
	s_cbranch_execz .LBB0_15
; %bb.14:
	v_add_f32_e32 v74, v38, v71
	v_dual_sub_f32 v73, v43, v39 :: v_dual_add_f32 v38, v41, v69
	v_sub_f32_e32 v39, v72, v40
	v_dual_sub_f32 v41, v70, v34 :: v_dual_add_nc_u32 v34, 0x800, v59
	v_dual_add_f32 v40, v35, v42 :: v_dual_add_nc_u32 v35, 0x1000, v59
	ds_store_2addr_b64 v59, v[32:33], v[40:41] offset1:150
	ds_store_2addr_b64 v34, v[38:39], v[73:74] offset0:44 offset1:194
	ds_store_2addr_b64 v35, v[36:37], v[57:58] offset0:88 offset1:238
	ds_store_b64 v59, v[55:56] offset:7200
.LBB0_15:
	s_wait_alu 0xfffe
	s_or_b32 exec_lo, exec_lo, s2
	s_add_nc_u64 s[2:3], s[16:17], 0x20d0
	global_wb scope:SCOPE_SE
	s_wait_dscnt 0x0
	s_barrier_signal -1
	s_barrier_wait -1
	global_inv scope:SCOPE_SE
	s_clause 0x3
	global_load_b64 v[38:39], v[45:46], off offset:8400
	global_load_b64 v[42:43], v59, s[2:3] offset:5880
	global_load_b64 v[40:41], v59, s[2:3] offset:1680
	;; [unrolled: 1-line block ×3, first 2 shown]
	ds_load_2addr_b64 v[32:35], v59 offset1:210
	s_wait_loadcnt_dscnt 0x300
	v_mul_f32_e32 v71, v33, v39
	s_wait_loadcnt 0x1
	v_dual_mul_f32 v72, v32, v39 :: v_dual_mul_f32 v39, v35, v41
	v_mul_f32_e32 v74, v34, v41
	s_delay_alu instid0(VALU_DEP_3) | instskip(NEXT) | instid1(VALU_DEP_3)
	v_fma_f32 v71, v32, v38, -v71
	v_fmac_f32_e32 v72, v33, v38
	v_add_nc_u32_e32 v32, 0x1000, v59
	v_fma_f32 v73, v34, v40, -v39
	v_fmac_f32_e32 v74, v35, v40
	ds_store_b64 v59, v[71:72]
	ds_load_2addr_b64 v[38:41], v32 offset0:13 offset1:223
	s_wait_dscnt 0x0
	v_mul_f32_e32 v35, v41, v43
	s_wait_loadcnt 0x0
	v_mul_f32_e32 v33, v39, v70
	v_mul_f32_e32 v34, v38, v70
	v_mul_f32_e32 v70, v40, v43
	s_delay_alu instid0(VALU_DEP_3) | instskip(NEXT) | instid1(VALU_DEP_3)
	v_fma_f32 v33, v38, v69, -v33
	v_fmac_f32_e32 v34, v39, v69
	v_fma_f32 v69, v40, v42, -v35
	s_delay_alu instid0(VALU_DEP_4)
	v_fmac_f32_e32 v70, v41, v42
	ds_store_b64 v59, v[73:74] offset:1680
	ds_store_2addr_b64 v32, v[33:34], v[69:70] offset0:13 offset1:223
	s_and_saveexec_b32 s10, vcc_lo
	s_cbranch_execz .LBB0_17
; %bb.16:
	s_wait_alu 0xfffe
	v_add_co_u32 v33, s2, s2, v59
	s_wait_alu 0xf1ff
	v_add_co_ci_u32_e64 v34, null, s3, 0, s2
	s_clause 0x1
	global_load_b64 v[38:39], v[33:34], off offset:3360
	global_load_b64 v[33:34], v[33:34], off offset:7560
	ds_load_b64 v[40:41], v59 offset:3360
	ds_load_b64 v[42:43], v59 offset:7560
	s_wait_loadcnt_dscnt 0x0
	v_dual_mul_f32 v69, v41, v39 :: v_dual_mul_f32 v70, v43, v34
	v_mul_f32_e32 v35, v40, v39
	v_mul_f32_e32 v39, v42, v34
	s_delay_alu instid0(VALU_DEP_3) | instskip(NEXT) | instid1(VALU_DEP_3)
	v_fma_f32 v34, v40, v38, -v69
	v_fmac_f32_e32 v35, v41, v38
	v_fma_f32 v38, v42, v33, -v70
	s_delay_alu instid0(VALU_DEP_4)
	v_fmac_f32_e32 v39, v43, v33
	ds_store_b64 v59, v[34:35] offset:3360
	ds_store_b64 v59, v[38:39] offset:7560
.LBB0_17:
	s_wait_alu 0xfffe
	s_or_b32 exec_lo, exec_lo, s10
	global_wb scope:SCOPE_SE
	s_wait_dscnt 0x0
	s_barrier_signal -1
	s_barrier_wait -1
	global_inv scope:SCOPE_SE
	ds_load_2addr_b64 v[39:42], v59 offset1:210
	ds_load_2addr_b64 v[32:35], v32 offset0:13 offset1:223
	s_and_saveexec_b32 s2, vcc_lo
	s_cbranch_execz .LBB0_19
; %bb.18:
	ds_load_b64 v[36:37], v59 offset:3360
	ds_load_b64 v[57:58], v59 offset:7560
.LBB0_19:
	s_wait_alu 0xfffe
	s_or_b32 exec_lo, exec_lo, s2
	s_wait_dscnt 0x0
	v_dual_sub_f32 v71, v39, v32 :: v_dual_sub_f32 v72, v40, v33
	v_sub_f32_e32 v38, v36, v57
	v_dual_sub_f32 v34, v41, v34 :: v_dual_sub_f32 v35, v42, v35
	s_delay_alu instid0(VALU_DEP_3)
	v_fma_f32 v69, v39, 2.0, -v71
	v_sub_f32_e32 v39, v37, v58
	v_fma_f32 v70, v40, 2.0, -v72
	v_fma_f32 v36, v36, 2.0, -v38
	;; [unrolled: 1-line block ×5, first 2 shown]
	global_wb scope:SCOPE_SE
	s_barrier_signal -1
	s_barrier_wait -1
	global_inv scope:SCOPE_SE
	ds_store_b128 v64, v[69:72]
	ds_store_b128 v65, v[32:35]
	s_and_saveexec_b32 s2, vcc_lo
	s_cbranch_execz .LBB0_21
; %bb.20:
	ds_store_b128 v63, v[36:39]
.LBB0_21:
	s_wait_alu 0xfffe
	s_or_b32 exec_lo, exec_lo, s2
	global_wb scope:SCOPE_SE
	s_wait_dscnt 0x0
	s_barrier_signal -1
	s_barrier_wait -1
	global_inv scope:SCOPE_SE
	ds_load_b64 v[32:33], v59
	ds_load_b64 v[42:43], v59 offset:2800
	ds_load_b64 v[40:41], v59 offset:5600
	s_and_saveexec_b32 s2, s0
	s_cbranch_execz .LBB0_23
; %bb.22:
	ds_load_b64 v[34:35], v59 offset:1680
	ds_load_b64 v[36:37], v59 offset:4480
	;; [unrolled: 1-line block ×3, first 2 shown]
.LBB0_23:
	s_wait_alu 0xfffe
	s_or_b32 exec_lo, exec_lo, s2
	s_wait_dscnt 0x0
	v_dual_mul_f32 v58, v1, v43 :: v_dual_mul_f32 v63, v3, v41
	v_dual_mul_f32 v57, v1, v42 :: v_dual_mul_f32 v64, v3, v40
	global_wb scope:SCOPE_SE
	v_dual_fmac_f32 v58, v0, v42 :: v_dual_fmac_f32 v63, v2, v40
	v_mul_f32_e32 v40, v1, v37
	v_dual_mul_f32 v42, v1, v36 :: v_dual_mul_f32 v1, v3, v39
	v_fma_f32 v43, v0, v43, -v57
	s_delay_alu instid0(VALU_DEP_4) | instskip(SKIP_3) | instid1(VALU_DEP_4)
	v_add_f32_e32 v57, v58, v63
	v_fma_f32 v64, v2, v41, -v64
	v_dual_mul_f32 v3, v3, v38 :: v_dual_fmac_f32 v40, v0, v36
	v_add_f32_e32 v41, v32, v58
	v_fma_f32 v32, -0.5, v57, v32
	v_fma_f32 v36, v0, v37, -v42
	v_fmac_f32_e32 v1, v2, v38
	v_fma_f32 v0, v2, v39, -v3
	v_add_f32_e32 v2, v43, v64
	v_dual_sub_f32 v65, v43, v64 :: v_dual_add_f32 v42, v41, v63
	s_delay_alu instid0(VALU_DEP_3) | instskip(NEXT) | instid1(VALU_DEP_3)
	v_dual_add_f32 v43, v33, v43 :: v_dual_add_f32 v38, v0, v36
	v_fmac_f32_e32 v33, -0.5, v2
	s_delay_alu instid0(VALU_DEP_3) | instskip(SKIP_4) | instid1(VALU_DEP_3)
	v_fmamk_f32 v57, v65, 0xbf5db3d7, v32
	v_dual_fmac_f32 v32, 0x3f5db3d7, v65 :: v_dual_add_f32 v3, v1, v40
	v_dual_sub_f32 v2, v58, v63 :: v_dual_sub_f32 v39, v36, v0
	v_fma_f32 v38, -0.5, v38, v35
	s_barrier_signal -1
	v_fma_f32 v37, -0.5, v3, v34
	s_delay_alu instid0(VALU_DEP_3) | instskip(SKIP_2) | instid1(VALU_DEP_4)
	v_dual_sub_f32 v41, v40, v1 :: v_dual_fmamk_f32 v58, v2, 0x3f5db3d7, v33
	v_add_f32_e32 v43, v43, v64
	v_fmac_f32_e32 v33, 0xbf5db3d7, v2
	v_fmamk_f32 v2, v39, 0x3f5db3d7, v37
	s_delay_alu instid0(VALU_DEP_4)
	v_fmamk_f32 v3, v41, 0xbf5db3d7, v38
	s_barrier_wait -1
	global_inv scope:SCOPE_SE
	ds_store_2addr_b64 v66, v[42:43], v[57:58] offset1:2
	ds_store_b64 v66, v[32:33] offset:32
	s_and_saveexec_b32 s2, s0
	s_cbranch_execz .LBB0_25
; %bb.24:
	v_mul_u32_u24_e32 v32, 6, v62
	v_dual_mul_f32 v33, 0x3f5db3d7, v41 :: v_dual_add_f32 v34, v34, v40
	s_delay_alu instid0(VALU_DEP_1) | instskip(SKIP_1) | instid1(VALU_DEP_4)
	v_dual_mul_f32 v39, 0x3f5db3d7, v39 :: v_dual_add_f32 v34, v1, v34
	v_add_f32_e32 v35, v35, v36
	v_or_b32_e32 v36, v32, v61
	s_delay_alu instid0(VALU_DEP_3) | instskip(SKIP_1) | instid1(VALU_DEP_3)
	v_sub_f32_e32 v32, v37, v39
	v_add_f32_e32 v33, v33, v38
	v_dual_add_f32 v35, v0, v35 :: v_dual_lshlrev_b32 v0, 3, v36
	ds_store_2addr_b64 v0, v[34:35], v[32:33] offset1:2
	ds_store_b64 v0, v[2:3] offset:32
.LBB0_25:
	s_wait_alu 0xfffe
	s_or_b32 exec_lo, exec_lo, s2
	global_wb scope:SCOPE_SE
	s_wait_dscnt 0x0
	s_barrier_signal -1
	s_barrier_wait -1
	global_inv scope:SCOPE_SE
	ds_load_2addr_b64 v[32:35], v59 offset1:210
	v_add_nc_u32_e32 v40, 0xc00, v59
	s_wait_dscnt 0x0
	v_mul_f32_e32 v41, v9, v35
	v_mul_f32_e32 v9, v9, v34
	ds_load_b64 v[0:1], v59 offset:6720
	ds_load_2addr_b64 v[36:39], v40 offset0:36 offset1:246
	global_wb scope:SCOPE_SE
	s_wait_dscnt 0x0
	s_barrier_signal -1
	s_barrier_wait -1
	global_inv scope:SCOPE_SE
	v_dual_mul_f32 v42, v7, v1 :: v_dual_fmac_f32 v41, v8, v34
	v_fma_f32 v34, v8, v35, -v9
	v_mul_f32_e32 v8, v11, v36
	s_delay_alu instid0(VALU_DEP_3) | instskip(NEXT) | instid1(VALU_DEP_4)
	v_dual_mul_f32 v35, v11, v37 :: v_dual_fmac_f32 v42, v6, v0
	v_dual_mul_f32 v7, v7, v0 :: v_dual_add_f32 v0, v32, v41
	s_delay_alu instid0(VALU_DEP_2) | instskip(NEXT) | instid1(VALU_DEP_4)
	v_fmac_f32_e32 v35, v10, v36
	v_fma_f32 v36, v10, v37, -v8
	s_delay_alu instid0(VALU_DEP_3) | instskip(NEXT) | instid1(VALU_DEP_3)
	v_fma_f32 v43, v6, v1, -v7
	v_sub_f32_e32 v8, v41, v35
	v_mul_f32_e32 v11, v5, v39
	v_dual_mul_f32 v5, v5, v38 :: v_dual_add_f32 v6, v0, v35
	s_delay_alu instid0(VALU_DEP_4) | instskip(NEXT) | instid1(VALU_DEP_2)
	v_sub_f32_e32 v1, v34, v43
	v_fma_f32 v37, v4, v39, -v5
	s_delay_alu instid0(VALU_DEP_1) | instskip(SKIP_3) | instid1(VALU_DEP_3)
	v_sub_f32_e32 v9, v36, v37
	v_fmac_f32_e32 v11, v4, v38
	v_add_f32_e32 v4, v41, v42
	v_dual_sub_f32 v38, v41, v42 :: v_dual_sub_f32 v39, v35, v41
	v_add_f32_e32 v7, v35, v11
	s_delay_alu instid0(VALU_DEP_3) | instskip(NEXT) | instid1(VALU_DEP_2)
	v_fma_f32 v0, -0.5, v4, v32
	v_fma_f32 v4, -0.5, v7, v32
	s_delay_alu instid0(VALU_DEP_2) | instskip(SKIP_2) | instid1(VALU_DEP_3)
	v_dual_add_f32 v7, v6, v11 :: v_dual_fmamk_f32 v6, v9, 0x3f737871, v0
	v_dual_add_f32 v5, v33, v34 :: v_dual_sub_f32 v10, v42, v11
	v_sub_f32_e32 v41, v11, v42
	v_dual_sub_f32 v11, v35, v11 :: v_dual_fmac_f32 v6, 0xbf167918, v1
	s_delay_alu instid0(VALU_DEP_3) | instskip(SKIP_4) | instid1(VALU_DEP_4)
	v_dual_sub_f32 v35, v43, v37 :: v_dual_add_f32 v32, v8, v10
	v_fmamk_f32 v8, v1, 0xbf737871, v4
	v_dual_add_f32 v10, v7, v42 :: v_dual_add_f32 v57, v5, v36
	v_fmac_f32_e32 v0, 0xbf737871, v9
	v_fmac_f32_e32 v4, 0x3f737871, v1
	;; [unrolled: 1-line block ×3, first 2 shown]
	v_add_f32_e32 v5, v36, v37
	s_delay_alu instid0(VALU_DEP_3) | instskip(NEXT) | instid1(VALU_DEP_3)
	v_fmac_f32_e32 v4, 0x3f167918, v9
	v_fmac_f32_e32 v8, 0x3e9e377a, v32
	s_delay_alu instid0(VALU_DEP_3) | instskip(NEXT) | instid1(VALU_DEP_1)
	v_fma_f32 v5, -0.5, v5, v33
	v_fmamk_f32 v9, v38, 0x3f737871, v5
	v_dual_fmac_f32 v0, 0x3f167918, v1 :: v_dual_add_f32 v1, v34, v43
	v_dual_add_f32 v39, v39, v41 :: v_dual_fmac_f32 v4, 0x3e9e377a, v32
	s_delay_alu instid0(VALU_DEP_3) | instskip(NEXT) | instid1(VALU_DEP_3)
	v_dual_add_f32 v32, v57, v37 :: v_dual_fmac_f32 v9, 0x3f167918, v11
	v_fma_f32 v1, -0.5, v1, v33
	s_delay_alu instid0(VALU_DEP_3) | instskip(SKIP_2) | instid1(VALU_DEP_4)
	v_dual_fmac_f32 v6, 0x3e9e377a, v39 :: v_dual_sub_f32 v33, v34, v36
	v_fmac_f32_e32 v0, 0x3e9e377a, v39
	v_fmac_f32_e32 v5, 0xbf737871, v38
	v_dual_fmamk_f32 v7, v11, 0xbf737871, v1 :: v_dual_sub_f32 v34, v36, v34
	v_sub_f32_e32 v36, v37, v43
	v_fmac_f32_e32 v1, 0x3f737871, v11
	v_add_f32_e32 v33, v33, v35
	s_delay_alu instid0(VALU_DEP_4) | instskip(NEXT) | instid1(VALU_DEP_4)
	v_fmac_f32_e32 v7, 0x3f167918, v38
	v_dual_fmac_f32 v5, 0xbf167918, v11 :: v_dual_add_f32 v34, v34, v36
	s_delay_alu instid0(VALU_DEP_4) | instskip(SKIP_2) | instid1(VALU_DEP_4)
	v_fmac_f32_e32 v1, 0xbf167918, v38
	v_add_f32_e32 v11, v32, v43
	v_fmac_f32_e32 v9, 0x3e9e377a, v33
	v_fmac_f32_e32 v5, 0x3e9e377a, v33
	v_fmac_f32_e32 v7, 0x3e9e377a, v34
	v_fmac_f32_e32 v1, 0x3e9e377a, v34
	ds_store_2addr_b64 v67, v[10:11], v[8:9] offset1:6
	ds_store_2addr_b64 v67, v[6:7], v[0:1] offset0:12 offset1:18
	ds_store_b64 v67, v[4:5] offset:192
	global_wb scope:SCOPE_SE
	s_wait_dscnt 0x0
	s_barrier_signal -1
	s_barrier_wait -1
	global_inv scope:SCOPE_SE
	ds_load_2addr_b64 v[4:7], v40 offset0:36 offset1:246
	ds_load_2addr_b64 v[8:11], v59 offset1:210
	ds_load_b64 v[32:33], v59 offset:6720
	global_wb scope:SCOPE_SE
	s_wait_dscnt 0x0
	s_barrier_signal -1
	s_barrier_wait -1
	global_inv scope:SCOPE_SE
	v_mul_f32_e32 v34, v19, v5
	v_mul_f32_e32 v36, v17, v11
	;; [unrolled: 1-line block ×3, first 2 shown]
	s_delay_alu instid0(VALU_DEP_3) | instskip(NEXT) | instid1(VALU_DEP_3)
	v_fmac_f32_e32 v34, v18, v4
	v_dual_fmac_f32 v36, v16, v10 :: v_dual_mul_f32 v35, v13, v7
	s_delay_alu instid0(VALU_DEP_3) | instskip(SKIP_1) | instid1(VALU_DEP_3)
	v_fma_f32 v16, v16, v11, -v0
	v_mul_f32_e32 v11, v15, v33
	v_fmac_f32_e32 v35, v12, v6
	s_delay_alu instid0(VALU_DEP_2) | instskip(NEXT) | instid1(VALU_DEP_2)
	v_fmac_f32_e32 v11, v14, v32
	v_add_f32_e32 v0, v34, v35
	s_delay_alu instid0(VALU_DEP_1) | instskip(SKIP_2) | instid1(VALU_DEP_2)
	v_fma_f32 v0, -0.5, v0, v8
	v_mul_f32_e32 v1, v19, v4
	v_mul_f32_e32 v4, v15, v32
	v_fma_f32 v5, v18, v5, -v1
	v_mul_f32_e32 v1, v13, v6
	s_delay_alu instid0(VALU_DEP_3) | instskip(SKIP_2) | instid1(VALU_DEP_4)
	v_fma_f32 v17, v14, v33, -v4
	v_add_f32_e32 v14, v36, v11
	v_add_f32_e32 v4, v8, v36
	v_fma_f32 v12, v12, v7, -v1
	s_delay_alu instid0(VALU_DEP_1) | instskip(SKIP_2) | instid1(VALU_DEP_2)
	v_sub_f32_e32 v7, v5, v12
	v_sub_f32_e32 v13, v16, v17
	;; [unrolled: 1-line block ×3, first 2 shown]
	v_fmamk_f32 v6, v13, 0xbf737871, v0
	v_fmac_f32_e32 v0, 0x3f737871, v13
	v_sub_f32_e32 v10, v11, v35
	s_delay_alu instid0(VALU_DEP_3) | instskip(NEXT) | instid1(VALU_DEP_3)
	v_fmac_f32_e32 v6, 0xbf167918, v7
	v_dual_fmac_f32 v0, 0x3f167918, v7 :: v_dual_add_f32 v1, v4, v34
	v_sub_f32_e32 v4, v36, v34
	s_delay_alu instid0(VALU_DEP_1) | instskip(SKIP_2) | instid1(VALU_DEP_3)
	v_add_f32_e32 v15, v4, v10
	v_fma_f32 v10, -0.5, v14, v8
	v_sub_f32_e32 v14, v34, v36
	v_fmac_f32_e32 v6, 0x3e9e377a, v15
	v_fmac_f32_e32 v0, 0x3e9e377a, v15
	v_sub_f32_e32 v15, v35, v11
	v_sub_f32_e32 v18, v36, v11
	v_dual_add_f32 v1, v1, v35 :: v_dual_fmamk_f32 v8, v7, 0x3f737871, v10
	v_dual_fmac_f32 v10, 0xbf737871, v7 :: v_dual_add_f32 v7, v9, v16
	s_delay_alu instid0(VALU_DEP_2) | instskip(NEXT) | instid1(VALU_DEP_3)
	v_add_f32_e32 v4, v1, v11
	v_dual_fmac_f32 v8, 0xbf167918, v13 :: v_dual_add_f32 v1, v5, v12
	s_delay_alu instid0(VALU_DEP_3) | instskip(NEXT) | instid1(VALU_DEP_4)
	v_dual_add_f32 v11, v14, v15 :: v_dual_fmac_f32 v10, 0x3f167918, v13
	v_add_f32_e32 v13, v7, v5
	v_add_f32_e32 v14, v16, v17
	s_delay_alu instid0(VALU_DEP_4) | instskip(NEXT) | instid1(VALU_DEP_4)
	v_fma_f32 v1, -0.5, v1, v9
	v_fmac_f32_e32 v8, 0x3e9e377a, v11
	v_sub_f32_e32 v15, v34, v35
	v_dual_fmac_f32 v10, 0x3e9e377a, v11 :: v_dual_add_f32 v13, v13, v12
	s_delay_alu instid0(VALU_DEP_4) | instskip(SKIP_3) | instid1(VALU_DEP_4)
	v_fmamk_f32 v7, v18, 0x3f737871, v1
	v_fma_f32 v11, -0.5, v14, v9
	v_dual_sub_f32 v14, v16, v5 :: v_dual_fmac_f32 v1, 0xbf737871, v18
	v_sub_f32_e32 v5, v5, v16
	v_dual_fmac_f32 v7, 0x3f167918, v15 :: v_dual_sub_f32 v12, v12, v17
	s_delay_alu instid0(VALU_DEP_4) | instskip(SKIP_2) | instid1(VALU_DEP_4)
	v_fmamk_f32 v9, v15, 0xbf737871, v11
	v_fmac_f32_e32 v11, 0x3f737871, v15
	v_add_f32_e32 v14, v14, v19
	v_dual_fmac_f32 v1, 0xbf167918, v15 :: v_dual_add_f32 v12, v5, v12
	s_delay_alu instid0(VALU_DEP_4) | instskip(NEXT) | instid1(VALU_DEP_4)
	v_fmac_f32_e32 v9, 0x3f167918, v18
	v_fmac_f32_e32 v11, 0xbf167918, v18
	v_add_f32_e32 v5, v13, v17
	v_fmac_f32_e32 v7, 0x3e9e377a, v14
	v_fmac_f32_e32 v1, 0x3e9e377a, v14
	;; [unrolled: 1-line block ×4, first 2 shown]
	ds_store_2addr_b64 v68, v[4:5], v[6:7] offset1:30
	ds_store_2addr_b64 v68, v[8:9], v[10:11] offset0:60 offset1:90
	ds_store_b64 v68, v[0:1] offset:960
	global_wb scope:SCOPE_SE
	s_wait_dscnt 0x0
	s_barrier_signal -1
	s_barrier_wait -1
	global_inv scope:SCOPE_SE
	s_and_saveexec_b32 s0, s1
	s_cbranch_execz .LBB0_27
; %bb.26:
	v_add_nc_u32_e32 v0, 0x800, v59
	v_add_nc_u32_e32 v1, 0x1000, v59
	ds_load_2addr_b64 v[4:7], v59 offset1:150
	ds_load_2addr_b64 v[8:11], v0 offset0:44 offset1:194
	ds_load_2addr_b64 v[0:3], v1 offset0:88 offset1:238
	ds_load_b64 v[55:56], v59 offset:7200
.LBB0_27:
	s_wait_alu 0xfffe
	s_or_b32 exec_lo, exec_lo, s0
	s_and_saveexec_b32 s0, s1
	s_cbranch_execz .LBB0_29
; %bb.28:
	s_wait_dscnt 0x1
	v_dual_mul_f32 v12, v25, v7 :: v_dual_mul_f32 v13, v23, v1
	v_dual_mul_f32 v14, v21, v11 :: v_dual_mul_f32 v15, v27, v9
	s_wait_dscnt 0x0
	v_dual_mul_f32 v16, v29, v3 :: v_dual_mul_f32 v17, v31, v56
	s_delay_alu instid0(VALU_DEP_2) | instskip(NEXT) | instid1(VALU_DEP_2)
	v_dual_fmac_f32 v13, v22, v0 :: v_dual_fmac_f32 v14, v20, v10
	v_dual_fmac_f32 v15, v26, v8 :: v_dual_fmac_f32 v16, v28, v2
	s_delay_alu instid0(VALU_DEP_3) | instskip(NEXT) | instid1(VALU_DEP_3)
	v_dual_fmac_f32 v12, v24, v6 :: v_dual_fmac_f32 v17, v30, v55
	v_dual_sub_f32 v18, v13, v14 :: v_dual_mul_f32 v31, v31, v55
	s_delay_alu instid0(VALU_DEP_3) | instskip(NEXT) | instid1(VALU_DEP_3)
	v_dual_sub_f32 v19, v15, v16 :: v_dual_mul_f32 v6, v25, v6
	v_sub_f32_e32 v32, v12, v17
	v_mul_f32_e32 v8, v27, v8
	s_delay_alu instid0(VALU_DEP_4) | instskip(NEXT) | instid1(VALU_DEP_4)
	v_fma_f32 v25, v30, v56, -v31
	v_sub_f32_e32 v33, v18, v19
	v_fma_f32 v6, v24, v7, -v6
	v_dual_mul_f32 v7, v21, v10 :: v_dual_mul_f32 v0, v23, v0
	v_add_f32_e32 v12, v17, v12
	s_delay_alu instid0(VALU_DEP_4) | instskip(NEXT) | instid1(VALU_DEP_3)
	v_dual_sub_f32 v30, v32, v18 :: v_dual_mul_f32 v31, 0x3f08b237, v33
	v_fma_f32 v7, v20, v11, -v7
	s_delay_alu instid0(VALU_DEP_4) | instskip(SKIP_2) | instid1(VALU_DEP_3)
	v_fma_f32 v0, v22, v1, -v0
	v_dual_mul_f32 v2, v29, v2 :: v_dual_add_f32 v15, v16, v15
	v_add_f32_e32 v13, v14, v13
	v_add_f32_e32 v1, v7, v0
	s_delay_alu instid0(VALU_DEP_3) | instskip(SKIP_3) | instid1(VALU_DEP_3)
	v_fma_f32 v2, v28, v3, -v2
	v_fma_f32 v3, v26, v9, -v8
	v_add_f32_e32 v9, v25, v6
	v_sub_f32_e32 v7, v0, v7
	v_add_f32_e32 v10, v2, v3
	s_delay_alu instid0(VALU_DEP_3) | instskip(SKIP_1) | instid1(VALU_DEP_3)
	v_sub_f32_e32 v20, v9, v1
	v_dual_add_f32 v8, v18, v19 :: v_dual_sub_f32 v19, v19, v32
	v_add_f32_e32 v11, v10, v9
	s_delay_alu instid0(VALU_DEP_3) | instskip(NEXT) | instid1(VALU_DEP_3)
	v_mul_f32_e32 v17, 0x3f4a47b2, v20
	v_add_f32_e32 v8, v8, v32
	v_fmamk_f32 v18, v30, 0xbeae86e6, v31
	v_sub_f32_e32 v16, v1, v10
	s_delay_alu instid0(VALU_DEP_2) | instskip(NEXT) | instid1(VALU_DEP_1)
	v_dual_add_f32 v11, v1, v11 :: v_dual_fmac_f32 v18, 0xbee1c552, v8
	v_dual_mul_f32 v14, 0x3d64c772, v16 :: v_dual_add_f32 v1, v5, v11
	s_delay_alu instid0(VALU_DEP_1) | instskip(SKIP_3) | instid1(VALU_DEP_3)
	v_fmamk_f32 v11, v11, 0xbf955555, v1
	v_dual_add_f32 v5, v15, v12 :: v_dual_fmamk_f32 v16, v16, 0x3d64c772, v17
	v_sub_f32_e32 v20, v12, v13
	v_dual_sub_f32 v9, v10, v9 :: v_dual_sub_f32 v10, v15, v12
	v_add_f32_e32 v5, v13, v5
	v_sub_f32_e32 v13, v13, v15
	v_add_f32_e32 v16, v16, v11
	s_delay_alu instid0(VALU_DEP_3) | instskip(SKIP_1) | instid1(VALU_DEP_2)
	v_add_f32_e32 v0, v4, v5
	v_sub_f32_e32 v2, v3, v2
	v_dual_sub_f32 v4, v6, v25 :: v_dual_fmamk_f32 v5, v5, 0xbf955555, v0
	s_delay_alu instid0(VALU_DEP_2) | instskip(NEXT) | instid1(VALU_DEP_2)
	v_dual_mul_f32 v20, 0x3f4a47b2, v20 :: v_dual_sub_f32 v3, v7, v2
	v_sub_f32_e32 v12, v2, v4
	s_delay_alu instid0(VALU_DEP_2) | instskip(NEXT) | instid1(VALU_DEP_3)
	v_dual_fmamk_f32 v6, v13, 0x3d64c772, v20 :: v_dual_mul_f32 v13, 0x3d64c772, v13
	v_dual_mul_f32 v22, 0x3f08b237, v3 :: v_dual_add_f32 v3, v18, v16
	s_delay_alu instid0(VALU_DEP_2) | instskip(NEXT) | instid1(VALU_DEP_1)
	v_dual_add_f32 v23, v6, v5 :: v_dual_mul_f32 v6, 0xbf5ff5aa, v19
	v_fma_f32 v15, 0x3eae86e6, v30, -v6
	v_add_f32_e32 v2, v7, v2
	v_fma_f32 v6, 0xbf3bfb3b, v9, -v17
	v_mul_f32_e32 v17, 0xbf5ff5aa, v12
	v_sub_f32_e32 v21, v4, v7
	v_fmac_f32_e32 v15, 0xbee1c552, v8
	v_add_f32_e32 v2, v2, v4
	v_fma_f32 v4, 0x3f3bfb3b, v9, -v14
	v_fma_f32 v9, 0xbf5ff5aa, v19, -v31
	;; [unrolled: 1-line block ×3, first 2 shown]
	v_fmamk_f32 v24, v21, 0xbeae86e6, v22
	v_add_nc_u32_e32 v14, 0x800, v59
	s_delay_alu instid0(VALU_DEP_4) | instskip(NEXT) | instid1(VALU_DEP_4)
	v_fmac_f32_e32 v9, 0xbee1c552, v8
	v_fmac_f32_e32 v17, 0xbee1c552, v2
	v_fma_f32 v7, 0xbf3bfb3b, v10, -v20
	v_add_f32_e32 v20, v6, v11
	v_fma_f32 v6, 0x3f3bfb3b, v10, -v13
	v_add_f32_e32 v10, v4, v11
	v_sub_f32_e32 v13, v16, v18
	v_add_f32_e32 v25, v7, v5
	v_fma_f32 v12, 0xbf5ff5aa, v12, -v22
	v_dual_add_f32 v8, v6, v5 :: v_dual_add_f32 v5, v15, v20
	v_sub_f32_e32 v7, v10, v9
	v_add_f32_e32 v9, v9, v10
	s_delay_alu instid0(VALU_DEP_4) | instskip(SKIP_3) | instid1(VALU_DEP_4)
	v_dual_fmac_f32 v12, 0xbee1c552, v2 :: v_dual_sub_f32 v11, v20, v15
	v_fmac_f32_e32 v24, 0xbee1c552, v2
	v_add_f32_e32 v10, v17, v25
	v_dual_sub_f32 v4, v25, v17 :: v_dual_add_nc_u32 v15, 0x1000, v59
	v_add_f32_e32 v6, v12, v8
	v_sub_f32_e32 v8, v8, v12
	v_add_f32_e32 v12, v24, v23
	v_sub_f32_e32 v2, v23, v24
	ds_store_2addr_b64 v59, v[0:1], v[12:13] offset1:150
	ds_store_2addr_b64 v14, v[10:11], v[8:9] offset0:44 offset1:194
	ds_store_2addr_b64 v15, v[6:7], v[4:5] offset0:88 offset1:238
	ds_store_b64 v59, v[2:3] offset:7200
.LBB0_29:
	s_wait_alu 0xfffe
	s_or_b32 exec_lo, exec_lo, s0
	global_wb scope:SCOPE_SE
	s_wait_dscnt 0x0
	s_barrier_signal -1
	s_barrier_wait -1
	global_inv scope:SCOPE_SE
	ds_load_2addr_b64 v[0:3], v59 offset1:210
	v_add_nc_u32_e32 v4, 0x1000, v59
	v_mad_co_u64_u32 v[16:17], null, s6, v44, 0
	v_mad_co_u64_u32 v[18:19], null, s4, v60, 0
	s_mov_b32 s2, 0x859b8cec
	s_mov_b32 s3, 0x3f4f3526
	s_movk_i32 s10, 0xfec5
	s_mov_b32 s11, -1
	s_delay_alu instid0(VALU_DEP_1)
	v_mad_co_u64_u32 v[20:21], null, s7, v44, v[17:18]
	s_mul_u64 s[6:7], s[4:5], 0x20d
	s_wait_alu 0xfffe
	s_lshl_b64 s[6:7], s[6:7], 3
	s_wait_dscnt 0x0
	v_mul_f32_e32 v9, v50, v0
	ds_load_2addr_b64 v[4:7], v4 offset0:13 offset1:223
	v_mad_co_u64_u32 v[21:22], null, s5, v60, v[19:20]
	v_mul_f32_e32 v8, v50, v1
	v_mul_f32_e32 v10, v54, v3
	v_fma_f32 v9, v49, v1, -v9
	s_mul_u64 s[4:5], s[4:5], s[10:11]
	v_mov_b32_e32 v17, v20
	s_wait_alu 0xfffe
	s_lshl_b64 s[4:5], s[4:5], 3
	v_mov_b32_e32 v19, v21
	s_wait_dscnt 0x0
	v_mul_f32_e32 v15, v52, v6
	v_mul_f32_e32 v12, v48, v5
	v_mul_f32_e32 v13, v48, v4
	v_dual_mul_f32 v11, v54, v2 :: v_dual_fmac_f32 v8, v49, v0
	v_mul_f32_e32 v14, v52, v7
	v_fmac_f32_e32 v10, v53, v2
	v_fmac_f32_e32 v12, v47, v4
	s_delay_alu instid0(VALU_DEP_4)
	v_fma_f32 v11, v53, v3, -v11
	v_fma_f32 v13, v47, v5, -v13
	v_fmac_f32_e32 v14, v51, v6
	v_fma_f32 v15, v51, v7, -v15
	v_cvt_f64_f32_e32 v[0:1], v8
	v_cvt_f64_f32_e32 v[2:3], v9
	;; [unrolled: 1-line block ×8, first 2 shown]
	v_mul_f64_e32 v[0:1], s[2:3], v[0:1]
	v_mul_f64_e32 v[2:3], s[2:3], v[2:3]
	;; [unrolled: 1-line block ×8, first 2 shown]
	v_cvt_f32_f64_e32 v22, v[0:1]
	v_cvt_f32_f64_e32 v23, v[2:3]
	;; [unrolled: 1-line block ×8, first 2 shown]
	v_lshlrev_b64_e32 v[0:1], 3, v[16:17]
	v_lshlrev_b64_e32 v[8:9], 3, v[18:19]
	s_delay_alu instid0(VALU_DEP_2) | instskip(SKIP_1) | instid1(VALU_DEP_3)
	v_add_co_u32 v0, s0, s8, v0
	s_wait_alu 0xf1ff
	v_add_co_ci_u32_e64 v1, s0, s9, v1, s0
	s_delay_alu instid0(VALU_DEP_2) | instskip(SKIP_1) | instid1(VALU_DEP_2)
	v_add_co_u32 v8, s0, v0, v8
	s_wait_alu 0xf1ff
	v_add_co_ci_u32_e64 v9, s0, v1, v9, s0
	s_delay_alu instid0(VALU_DEP_2) | instskip(SKIP_1) | instid1(VALU_DEP_2)
	v_add_co_u32 v10, s0, v8, s6
	s_wait_alu 0xf1ff
	v_add_co_ci_u32_e64 v11, s0, s7, v9, s0
	s_wait_alu 0xfffe
	s_delay_alu instid0(VALU_DEP_2) | instskip(SKIP_1) | instid1(VALU_DEP_2)
	v_add_co_u32 v12, s0, v10, s4
	s_wait_alu 0xf1ff
	v_add_co_ci_u32_e64 v13, s0, s5, v11, s0
	s_delay_alu instid0(VALU_DEP_2) | instskip(SKIP_1) | instid1(VALU_DEP_2)
	v_add_co_u32 v0, s0, v12, s6
	s_wait_alu 0xf1ff
	v_add_co_ci_u32_e64 v1, s0, s7, v13, s0
	s_clause 0x3
	global_store_b64 v[8:9], v[22:23], off
	global_store_b64 v[10:11], v[4:5], off
	;; [unrolled: 1-line block ×4, first 2 shown]
	s_and_b32 exec_lo, exec_lo, vcc_lo
	s_cbranch_execz .LBB0_31
; %bb.30:
	s_clause 0x1
	global_load_b64 v[2:3], v[45:46], off offset:3360
	global_load_b64 v[4:5], v[45:46], off offset:7560
	ds_load_b64 v[6:7], v59 offset:3360
	ds_load_b64 v[8:9], v59 offset:7560
	v_add_co_u32 v0, vcc_lo, v0, s4
	s_wait_alu 0xfffd
	v_add_co_ci_u32_e32 v1, vcc_lo, s5, v1, vcc_lo
	s_wait_loadcnt_dscnt 0x0
	v_dual_mul_f32 v10, v7, v3 :: v_dual_mul_f32 v11, v9, v5
	v_mul_f32_e32 v3, v6, v3
	s_delay_alu instid0(VALU_DEP_2) | instskip(NEXT) | instid1(VALU_DEP_3)
	v_dual_mul_f32 v5, v8, v5 :: v_dual_fmac_f32 v10, v6, v2
	v_fmac_f32_e32 v11, v8, v4
	s_delay_alu instid0(VALU_DEP_3) | instskip(NEXT) | instid1(VALU_DEP_3)
	v_fma_f32 v6, v2, v7, -v3
	v_fma_f32 v8, v4, v9, -v5
	s_delay_alu instid0(VALU_DEP_4) | instskip(NEXT) | instid1(VALU_DEP_3)
	v_cvt_f64_f32_e32 v[2:3], v10
	v_cvt_f64_f32_e32 v[4:5], v6
	;; [unrolled: 1-line block ×3, first 2 shown]
	s_delay_alu instid0(VALU_DEP_4) | instskip(NEXT) | instid1(VALU_DEP_4)
	v_cvt_f64_f32_e32 v[8:9], v8
	v_mul_f64_e32 v[2:3], s[2:3], v[2:3]
	s_delay_alu instid0(VALU_DEP_4) | instskip(NEXT) | instid1(VALU_DEP_4)
	v_mul_f64_e32 v[4:5], s[2:3], v[4:5]
	v_mul_f64_e32 v[6:7], s[2:3], v[6:7]
	s_delay_alu instid0(VALU_DEP_4) | instskip(NEXT) | instid1(VALU_DEP_4)
	v_mul_f64_e32 v[8:9], s[2:3], v[8:9]
	v_cvt_f32_f64_e32 v2, v[2:3]
	s_delay_alu instid0(VALU_DEP_4) | instskip(NEXT) | instid1(VALU_DEP_4)
	v_cvt_f32_f64_e32 v3, v[4:5]
	v_cvt_f32_f64_e32 v4, v[6:7]
	s_delay_alu instid0(VALU_DEP_4)
	v_cvt_f32_f64_e32 v5, v[8:9]
	v_add_co_u32 v6, vcc_lo, v0, s6
	s_wait_alu 0xfffd
	v_add_co_ci_u32_e32 v7, vcc_lo, s7, v1, vcc_lo
	global_store_b64 v[0:1], v[2:3], off
	global_store_b64 v[6:7], v[4:5], off
.LBB0_31:
	s_nop 0
	s_sendmsg sendmsg(MSG_DEALLOC_VGPRS)
	s_endpgm
	.section	.rodata,"a",@progbits
	.p2align	6, 0x0
	.amdhsa_kernel bluestein_single_back_len1050_dim1_sp_op_CI_CI
		.amdhsa_group_segment_fixed_size 8400
		.amdhsa_private_segment_fixed_size 0
		.amdhsa_kernarg_size 104
		.amdhsa_user_sgpr_count 2
		.amdhsa_user_sgpr_dispatch_ptr 0
		.amdhsa_user_sgpr_queue_ptr 0
		.amdhsa_user_sgpr_kernarg_segment_ptr 1
		.amdhsa_user_sgpr_dispatch_id 0
		.amdhsa_user_sgpr_private_segment_size 0
		.amdhsa_wavefront_size32 1
		.amdhsa_uses_dynamic_stack 0
		.amdhsa_enable_private_segment 0
		.amdhsa_system_sgpr_workgroup_id_x 1
		.amdhsa_system_sgpr_workgroup_id_y 0
		.amdhsa_system_sgpr_workgroup_id_z 0
		.amdhsa_system_sgpr_workgroup_info 0
		.amdhsa_system_vgpr_workitem_id 0
		.amdhsa_next_free_vgpr 79
		.amdhsa_next_free_sgpr 18
		.amdhsa_reserve_vcc 1
		.amdhsa_float_round_mode_32 0
		.amdhsa_float_round_mode_16_64 0
		.amdhsa_float_denorm_mode_32 3
		.amdhsa_float_denorm_mode_16_64 3
		.amdhsa_fp16_overflow 0
		.amdhsa_workgroup_processor_mode 1
		.amdhsa_memory_ordered 1
		.amdhsa_forward_progress 0
		.amdhsa_round_robin_scheduling 0
		.amdhsa_exception_fp_ieee_invalid_op 0
		.amdhsa_exception_fp_denorm_src 0
		.amdhsa_exception_fp_ieee_div_zero 0
		.amdhsa_exception_fp_ieee_overflow 0
		.amdhsa_exception_fp_ieee_underflow 0
		.amdhsa_exception_fp_ieee_inexact 0
		.amdhsa_exception_int_div_zero 0
	.end_amdhsa_kernel
	.text
.Lfunc_end0:
	.size	bluestein_single_back_len1050_dim1_sp_op_CI_CI, .Lfunc_end0-bluestein_single_back_len1050_dim1_sp_op_CI_CI
                                        ; -- End function
	.section	.AMDGPU.csdata,"",@progbits
; Kernel info:
; codeLenInByte = 7756
; NumSgprs: 20
; NumVgprs: 79
; ScratchSize: 0
; MemoryBound: 0
; FloatMode: 240
; IeeeMode: 1
; LDSByteSize: 8400 bytes/workgroup (compile time only)
; SGPRBlocks: 2
; VGPRBlocks: 9
; NumSGPRsForWavesPerEU: 20
; NumVGPRsForWavesPerEU: 79
; Occupancy: 16
; WaveLimiterHint : 1
; COMPUTE_PGM_RSRC2:SCRATCH_EN: 0
; COMPUTE_PGM_RSRC2:USER_SGPR: 2
; COMPUTE_PGM_RSRC2:TRAP_HANDLER: 0
; COMPUTE_PGM_RSRC2:TGID_X_EN: 1
; COMPUTE_PGM_RSRC2:TGID_Y_EN: 0
; COMPUTE_PGM_RSRC2:TGID_Z_EN: 0
; COMPUTE_PGM_RSRC2:TIDIG_COMP_CNT: 0
	.text
	.p2alignl 7, 3214868480
	.fill 96, 4, 3214868480
	.type	__hip_cuid_7283d0500c9a2274,@object ; @__hip_cuid_7283d0500c9a2274
	.section	.bss,"aw",@nobits
	.globl	__hip_cuid_7283d0500c9a2274
__hip_cuid_7283d0500c9a2274:
	.byte	0                               ; 0x0
	.size	__hip_cuid_7283d0500c9a2274, 1

	.ident	"AMD clang version 19.0.0git (https://github.com/RadeonOpenCompute/llvm-project roc-6.4.0 25133 c7fe45cf4b819c5991fe208aaa96edf142730f1d)"
	.section	".note.GNU-stack","",@progbits
	.addrsig
	.addrsig_sym __hip_cuid_7283d0500c9a2274
	.amdgpu_metadata
---
amdhsa.kernels:
  - .args:
      - .actual_access:  read_only
        .address_space:  global
        .offset:         0
        .size:           8
        .value_kind:     global_buffer
      - .actual_access:  read_only
        .address_space:  global
        .offset:         8
        .size:           8
        .value_kind:     global_buffer
      - .actual_access:  read_only
        .address_space:  global
        .offset:         16
        .size:           8
        .value_kind:     global_buffer
      - .actual_access:  read_only
        .address_space:  global
        .offset:         24
        .size:           8
        .value_kind:     global_buffer
      - .actual_access:  read_only
        .address_space:  global
        .offset:         32
        .size:           8
        .value_kind:     global_buffer
      - .offset:         40
        .size:           8
        .value_kind:     by_value
      - .address_space:  global
        .offset:         48
        .size:           8
        .value_kind:     global_buffer
      - .address_space:  global
        .offset:         56
        .size:           8
        .value_kind:     global_buffer
      - .address_space:  global
        .offset:         64
        .size:           8
        .value_kind:     global_buffer
      - .address_space:  global
        .offset:         72
        .size:           8
        .value_kind:     global_buffer
      - .offset:         80
        .size:           4
        .value_kind:     by_value
      - .address_space:  global
        .offset:         88
        .size:           8
        .value_kind:     global_buffer
      - .address_space:  global
        .offset:         96
        .size:           8
        .value_kind:     global_buffer
    .group_segment_fixed_size: 8400
    .kernarg_segment_align: 8
    .kernarg_segment_size: 104
    .language:       OpenCL C
    .language_version:
      - 2
      - 0
    .max_flat_workgroup_size: 210
    .name:           bluestein_single_back_len1050_dim1_sp_op_CI_CI
    .private_segment_fixed_size: 0
    .sgpr_count:     20
    .sgpr_spill_count: 0
    .symbol:         bluestein_single_back_len1050_dim1_sp_op_CI_CI.kd
    .uniform_work_group_size: 1
    .uses_dynamic_stack: false
    .vgpr_count:     79
    .vgpr_spill_count: 0
    .wavefront_size: 32
    .workgroup_processor_mode: 1
amdhsa.target:   amdgcn-amd-amdhsa--gfx1201
amdhsa.version:
  - 1
  - 2
...

	.end_amdgpu_metadata
